;; amdgpu-corpus repo=ROCm/rocFFT kind=compiled arch=gfx1201 opt=O3
	.text
	.amdgcn_target "amdgcn-amd-amdhsa--gfx1201"
	.amdhsa_code_object_version 6
	.protected	fft_rtc_back_len100_factors_10_10_wgs_250_tpt_10_dim2_sp_ip_CI_sbcc_twdbase8_2step_dirReg_intrinsicReadWrite ; -- Begin function fft_rtc_back_len100_factors_10_10_wgs_250_tpt_10_dim2_sp_ip_CI_sbcc_twdbase8_2step_dirReg_intrinsicReadWrite
	.globl	fft_rtc_back_len100_factors_10_10_wgs_250_tpt_10_dim2_sp_ip_CI_sbcc_twdbase8_2step_dirReg_intrinsicReadWrite
	.p2align	8
	.type	fft_rtc_back_len100_factors_10_10_wgs_250_tpt_10_dim2_sp_ip_CI_sbcc_twdbase8_2step_dirReg_intrinsicReadWrite,@function
fft_rtc_back_len100_factors_10_10_wgs_250_tpt_10_dim2_sp_ip_CI_sbcc_twdbase8_2step_dirReg_intrinsicReadWrite: ; @fft_rtc_back_len100_factors_10_10_wgs_250_tpt_10_dim2_sp_ip_CI_sbcc_twdbase8_2step_dirReg_intrinsicReadWrite
; %bb.0:
	s_load_b128 s[4:7], s[0:1], 0x10
	s_mov_b32 s3, 0
	s_mov_b32 s8, 0xd7093700
	;; [unrolled: 1-line block ×4, first 2 shown]
	s_movk_i32 s10, 0xffe7
	s_add_nc_u64 s[8:9], s[2:3], s[8:9]
	s_mov_b32 s11, -1
	s_add_co_i32 s9, s9, 0xa3d7070
	s_delay_alu instid0(SALU_CYCLE_1) | instskip(NEXT) | instid1(SALU_CYCLE_1)
	s_mul_u64 s[12:13], s[8:9], s[10:11]
	s_mul_hi_u32 s2, s8, s12
	s_mul_i32 s15, s9, s12
	s_mul_hi_u32 s14, s9, s12
	s_mul_hi_u32 s16, s9, s13
	s_mul_i32 s12, s9, s13
	s_wait_kmcnt 0x0
	s_load_b64 s[10:11], s[4:5], 0x8
	s_mul_hi_u32 s5, s8, s13
	s_mul_i32 s4, s8, s13
	s_delay_alu instid0(SALU_CYCLE_1) | instskip(NEXT) | instid1(SALU_CYCLE_1)
	s_add_nc_u64 s[4:5], s[2:3], s[4:5]
	s_add_co_u32 s2, s4, s15
	s_add_co_ci_u32 s2, s5, s14
	s_add_co_ci_u32 s13, s16, 0
	s_delay_alu instid0(SALU_CYCLE_1) | instskip(NEXT) | instid1(SALU_CYCLE_1)
	s_add_nc_u64 s[4:5], s[2:3], s[12:13]
	v_add_co_u32 v1, s2, s8, s4
	s_delay_alu instid0(VALU_DEP_1) | instskip(SKIP_1) | instid1(VALU_DEP_1)
	s_cmp_lg_u32 s2, 0
	s_add_co_ci_u32 s12, s9, s5
	v_readfirstlane_b32 s13, v1
	s_wait_kmcnt 0x0
	s_add_nc_u64 s[4:5], s[10:11], -1
	s_wait_alu 0xfffe
	s_mul_hi_u32 s9, s4, s12
	s_mul_i32 s8, s4, s12
	s_mul_hi_u32 s2, s4, s13
	s_mul_hi_u32 s15, s5, s13
	s_mul_i32 s13, s5, s13
	s_wait_alu 0xfffe
	s_add_nc_u64 s[8:9], s[2:3], s[8:9]
	s_mul_hi_u32 s14, s5, s12
	s_wait_alu 0xfffe
	s_add_co_u32 s2, s8, s13
	s_add_co_ci_u32 s2, s9, s15
	s_mul_i32 s12, s5, s12
	s_add_co_ci_u32 s13, s14, 0
	s_delay_alu instid0(SALU_CYCLE_1) | instskip(NEXT) | instid1(SALU_CYCLE_1)
	s_add_nc_u64 s[12:13], s[2:3], s[12:13]
	s_mul_u64 s[8:9], s[12:13], 25
	s_wait_alu 0xfffe
	v_sub_co_u32 v1, s2, s4, s8
	s_delay_alu instid0(VALU_DEP_1) | instskip(SKIP_1) | instid1(VALU_DEP_1)
	s_cmp_lg_u32 s2, 0
	s_sub_co_ci_u32 s14, s5, s9
	v_sub_co_u32 v2, s4, v1, 25
	s_delay_alu instid0(VALU_DEP_1) | instskip(SKIP_2) | instid1(VALU_DEP_2)
	s_cmp_lg_u32 s4, 0
	v_readfirstlane_b32 s15, v1
	s_sub_co_ci_u32 s8, s14, 0
	v_readfirstlane_b32 s2, v2
	s_add_nc_u64 s[4:5], s[12:13], 1
	s_delay_alu instid0(VALU_DEP_1)
	s_cmp_gt_u32 s2, 24
	s_cselect_b32 s2, -1, 0
	s_wait_alu 0xfffe
	s_cmp_eq_u32 s8, 0
	s_add_nc_u64 s[8:9], s[12:13], 2
	s_cselect_b32 s2, s2, -1
	s_delay_alu instid0(SALU_CYCLE_1)
	s_cmp_lg_u32 s2, 0
	s_wait_alu 0xfffe
	s_cselect_b32 s2, s8, s4
	s_cselect_b32 s16, s9, s5
	s_cmp_gt_u32 s15, 24
	s_load_b64 s[4:5], s[0:1], 0x50
	s_cselect_b32 s8, -1, 0
	s_cmp_eq_u32 s14, 0
	s_wait_alu 0xfffe
	s_cselect_b32 s14, s8, -1
	s_load_b64 s[8:9], s[6:7], 0x0
	s_cmp_lg_u32 s14, 0
	s_mov_b64 s[14:15], 0
	s_cselect_b32 s13, s16, s13
	s_cselect_b32 s12, s2, s12
	s_mov_b32 s2, ttmp9
	s_add_nc_u64 s[12:13], s[12:13], 1
	s_wait_kmcnt 0x0
	v_cmp_lt_u64_e64 s9, s[2:3], s[12:13]
	s_delay_alu instid0(VALU_DEP_1)
	s_and_b32 vcc_lo, exec_lo, s9
	s_cbranch_vccnz .LBB0_2
; %bb.1:
	v_cvt_f32_u32_e32 v1, s12
	s_sub_co_i32 s14, 0, s12
	s_delay_alu instid0(VALU_DEP_1) | instskip(NEXT) | instid1(TRANS32_DEP_1)
	v_rcp_iflag_f32_e32 v1, v1
	v_mul_f32_e32 v1, 0x4f7ffffe, v1
	s_delay_alu instid0(VALU_DEP_1) | instskip(NEXT) | instid1(VALU_DEP_1)
	v_cvt_u32_f32_e32 v1, v1
	v_readfirstlane_b32 s9, v1
	s_delay_alu instid0(VALU_DEP_1) | instskip(NEXT) | instid1(SALU_CYCLE_1)
	s_mul_i32 s14, s14, s9
	s_mul_hi_u32 s14, s9, s14
	s_delay_alu instid0(SALU_CYCLE_1)
	s_add_co_i32 s9, s9, s14
	s_wait_alu 0xfffe
	s_mul_hi_u32 s9, s2, s9
	s_wait_alu 0xfffe
	s_mul_i32 s14, s9, s12
	s_add_co_i32 s15, s9, 1
	s_sub_co_i32 s14, s2, s14
	s_delay_alu instid0(SALU_CYCLE_1)
	s_sub_co_i32 s16, s14, s12
	s_cmp_ge_u32 s14, s12
	s_cselect_b32 s9, s15, s9
	s_cselect_b32 s14, s16, s14
	s_wait_alu 0xfffe
	s_add_co_i32 s15, s9, 1
	s_cmp_ge_u32 s14, s12
	s_cselect_b32 s14, s15, s9
	s_mov_b32 s15, s3
.LBB0_2:
	v_mul_u32_u24_e32 v1, 0xa3e, v0
	s_load_b128 s[16:19], s[6:7], 0x8
	s_mul_u64 s[6:7], s[14:15], s[12:13]
	v_mov_b32_e32 v4, 0
	s_sub_nc_u64 s[2:3], s[2:3], s[6:7]
	v_lshrrev_b32_e32 v23, 16, v1
	s_wait_alu 0xfffe
	s_mul_u64 s[2:3], s[2:3], 25
	s_wait_alu 0xfffe
	s_add_nc_u64 s[6:7], s[2:3], 25
	s_delay_alu instid0(SALU_CYCLE_1) | instskip(SKIP_1) | instid1(VALU_DEP_1)
	v_cmp_le_u64_e64 s9, s[6:7], s[10:11]
	v_mul_lo_u16 v1, v23, 25
	v_sub_nc_u16 v1, v0, v1
	s_delay_alu instid0(VALU_DEP_1) | instskip(SKIP_1) | instid1(VALU_DEP_1)
	v_and_b32_e32 v24, 0xffff, v1
	s_wait_kmcnt 0x0
	v_mad_co_u64_u32 v[17:18], null, s16, v24, 0
	s_delay_alu instid0(VALU_DEP_1) | instskip(SKIP_3) | instid1(VALU_DEP_3)
	v_mov_b32_e32 v1, v18
	v_add_co_u32 v18, s6, s2, v24
	s_wait_alu 0xf1ff
	v_add_co_ci_u32_e64 v19, null, s3, 0, s6
	v_mad_co_u64_u32 v[1:2], null, s17, v24, v[1:2]
	v_mov_b32_e32 v2, 0
	s_delay_alu instid0(VALU_DEP_3)
	v_cmp_gt_u64_e32 vcc_lo, s[10:11], v[18:19]
	v_mov_b32_e32 v1, 0
	s_mul_u64 s[2:3], s[2:3], s[16:17]
	s_mul_u64 s[6:7], s[18:19], s[14:15]
	s_wait_alu 0xfffe
	s_add_nc_u64 s[6:7], s[6:7], s[2:3]
	s_or_b32 s2, s9, vcc_lo
	s_wait_alu 0xfffe
	s_and_saveexec_b32 s3, s2
	s_cbranch_execz .LBB0_4
; %bb.3:
	v_mul_lo_u32 v1, s8, v23
	v_mov_b32_e32 v2, 0
	s_delay_alu instid0(VALU_DEP_2) | instskip(NEXT) | instid1(VALU_DEP_1)
	v_add3_u32 v1, s6, v17, v1
	v_lshlrev_b64_e32 v[1:2], 3, v[1:2]
	s_delay_alu instid0(VALU_DEP_1) | instskip(NEXT) | instid1(VALU_DEP_2)
	v_add_co_u32 v1, vcc_lo, s4, v1
	v_add_co_ci_u32_e32 v2, vcc_lo, s5, v2, vcc_lo
	global_load_b64 v[1:2], v[1:2], off
.LBB0_4:
	s_wait_alu 0xfffe
	s_or_b32 exec_lo, exec_lo, s3
	v_mov_b32_e32 v3, 0
	s_and_saveexec_b32 s3, s2
	s_cbranch_execz .LBB0_6
; %bb.5:
	v_dual_mov_b32 v4, 0 :: v_dual_add_nc_u32 v3, 10, v23
	s_delay_alu instid0(VALU_DEP_1) | instskip(NEXT) | instid1(VALU_DEP_1)
	v_mul_lo_u32 v3, s8, v3
	v_add3_u32 v3, s6, v17, v3
	s_delay_alu instid0(VALU_DEP_1) | instskip(NEXT) | instid1(VALU_DEP_1)
	v_lshlrev_b64_e32 v[3:4], 3, v[3:4]
	v_add_co_u32 v3, vcc_lo, s4, v3
	s_wait_alu 0xfffd
	s_delay_alu instid0(VALU_DEP_2)
	v_add_co_ci_u32_e32 v4, vcc_lo, s5, v4, vcc_lo
	global_load_b64 v[3:4], v[3:4], off
.LBB0_6:
	s_wait_alu 0xfffe
	s_or_b32 exec_lo, exec_lo, s3
	v_dual_mov_b32 v6, 0 :: v_dual_mov_b32 v11, 0
	v_mov_b32_e32 v12, 0
	s_and_saveexec_b32 s3, s2
	s_cbranch_execz .LBB0_8
; %bb.7:
	v_dual_mov_b32 v8, 0 :: v_dual_add_nc_u32 v5, 20, v23
	s_delay_alu instid0(VALU_DEP_1) | instskip(NEXT) | instid1(VALU_DEP_1)
	v_mul_lo_u32 v5, s8, v5
	v_add3_u32 v7, s6, v17, v5
	s_delay_alu instid0(VALU_DEP_1) | instskip(NEXT) | instid1(VALU_DEP_1)
	v_lshlrev_b64_e32 v[7:8], 3, v[7:8]
	v_add_co_u32 v7, vcc_lo, s4, v7
	s_wait_alu 0xfffd
	s_delay_alu instid0(VALU_DEP_2)
	v_add_co_ci_u32_e32 v8, vcc_lo, s5, v8, vcc_lo
	global_load_b64 v[11:12], v[7:8], off
.LBB0_8:
	s_wait_alu 0xfffe
	s_or_b32 exec_lo, exec_lo, s3
	v_mov_b32_e32 v5, 0
	s_and_saveexec_b32 s3, s2
	s_cbranch_execz .LBB0_10
; %bb.9:
	v_dual_mov_b32 v6, 0 :: v_dual_add_nc_u32 v5, 30, v23
	s_delay_alu instid0(VALU_DEP_1) | instskip(NEXT) | instid1(VALU_DEP_1)
	v_mul_lo_u32 v5, s8, v5
	v_add3_u32 v5, s6, v17, v5
	s_delay_alu instid0(VALU_DEP_1) | instskip(NEXT) | instid1(VALU_DEP_1)
	v_lshlrev_b64_e32 v[5:6], 3, v[5:6]
	v_add_co_u32 v5, vcc_lo, s4, v5
	s_wait_alu 0xfffd
	s_delay_alu instid0(VALU_DEP_2)
	v_add_co_ci_u32_e32 v6, vcc_lo, s5, v6, vcc_lo
	global_load_b64 v[5:6], v[5:6], off
.LBB0_10:
	s_wait_alu 0xfffe
	s_or_b32 exec_lo, exec_lo, s3
	v_dual_mov_b32 v8, 0 :: v_dual_mov_b32 v15, 0
	v_mov_b32_e32 v16, 0
	s_and_saveexec_b32 s3, s2
	s_cbranch_execz .LBB0_12
; %bb.11:
	v_dual_mov_b32 v10, 0 :: v_dual_add_nc_u32 v7, 40, v23
	s_delay_alu instid0(VALU_DEP_1) | instskip(NEXT) | instid1(VALU_DEP_1)
	v_mul_lo_u32 v7, s8, v7
	v_add3_u32 v9, s6, v17, v7
	s_delay_alu instid0(VALU_DEP_1) | instskip(NEXT) | instid1(VALU_DEP_1)
	v_lshlrev_b64_e32 v[9:10], 3, v[9:10]
	v_add_co_u32 v9, vcc_lo, s4, v9
	s_wait_alu 0xfffd
	s_delay_alu instid0(VALU_DEP_2)
	v_add_co_ci_u32_e32 v10, vcc_lo, s5, v10, vcc_lo
	global_load_b64 v[15:16], v[9:10], off
.LBB0_12:
	;; [unrolled: 37-line block ×3, first 2 shown]
	s_wait_alu 0xfffe
	s_or_b32 exec_lo, exec_lo, s3
	v_mov_b32_e32 v9, 0
	s_and_saveexec_b32 s3, s2
	s_cbranch_execz .LBB0_18
; %bb.17:
	v_dual_mov_b32 v10, 0 :: v_dual_add_nc_u32 v9, 0x46, v23
	s_delay_alu instid0(VALU_DEP_1) | instskip(NEXT) | instid1(VALU_DEP_1)
	v_mul_lo_u32 v9, s8, v9
	v_add3_u32 v9, s6, v17, v9
	s_delay_alu instid0(VALU_DEP_1) | instskip(NEXT) | instid1(VALU_DEP_1)
	v_lshlrev_b64_e32 v[9:10], 3, v[9:10]
	v_add_co_u32 v9, vcc_lo, s4, v9
	s_wait_alu 0xfffd
	s_delay_alu instid0(VALU_DEP_2)
	v_add_co_ci_u32_e32 v10, vcc_lo, s5, v10, vcc_lo
	global_load_b64 v[9:10], v[9:10], off
.LBB0_18:
	s_wait_alu 0xfffe
	s_or_b32 exec_lo, exec_lo, s3
	v_dual_mov_b32 v14, 0 :: v_dual_mov_b32 v21, 0
	v_mov_b32_e32 v22, 0
	s_and_saveexec_b32 s3, s2
	s_cbranch_execz .LBB0_20
; %bb.19:
	v_or_b32_e32 v13, 0x50, v23
	v_mov_b32_e32 v22, 0
	s_delay_alu instid0(VALU_DEP_2) | instskip(NEXT) | instid1(VALU_DEP_1)
	v_mul_lo_u32 v13, s8, v13
	v_add3_u32 v21, s6, v17, v13
	s_delay_alu instid0(VALU_DEP_1) | instskip(NEXT) | instid1(VALU_DEP_1)
	v_lshlrev_b64_e32 v[21:22], 3, v[21:22]
	v_add_co_u32 v21, vcc_lo, s4, v21
	s_wait_alu 0xfffd
	s_delay_alu instid0(VALU_DEP_2)
	v_add_co_ci_u32_e32 v22, vcc_lo, s5, v22, vcc_lo
	global_load_b64 v[21:22], v[21:22], off
.LBB0_20:
	s_wait_alu 0xfffe
	s_or_b32 exec_lo, exec_lo, s3
	v_mov_b32_e32 v13, 0
	s_and_saveexec_b32 s3, s2
	s_cbranch_execz .LBB0_22
; %bb.21:
	v_dual_mov_b32 v14, 0 :: v_dual_add_nc_u32 v13, 0x5a, v23
	s_delay_alu instid0(VALU_DEP_1) | instskip(NEXT) | instid1(VALU_DEP_1)
	v_mul_lo_u32 v13, s8, v13
	v_add3_u32 v13, s6, v17, v13
	s_delay_alu instid0(VALU_DEP_1) | instskip(NEXT) | instid1(VALU_DEP_1)
	v_lshlrev_b64_e32 v[13:14], 3, v[13:14]
	v_add_co_u32 v13, vcc_lo, s4, v13
	s_wait_alu 0xfffd
	s_delay_alu instid0(VALU_DEP_2)
	v_add_co_ci_u32_e32 v14, vcc_lo, s5, v14, vcc_lo
	global_load_b64 v[13:14], v[13:14], off
.LBB0_22:
	s_wait_alu 0xfffe
	s_or_b32 exec_lo, exec_lo, s3
	s_wait_loadcnt 0x0
	v_dual_add_f32 v25, v15, v19 :: v_dual_sub_f32 v28, v16, v20
	v_dual_add_f32 v26, v1, v11 :: v_dual_sub_f32 v27, v12, v22
	v_dual_sub_f32 v30, v21, v19 :: v_dual_add_f32 v31, v11, v21
	s_delay_alu instid0(VALU_DEP_3) | instskip(NEXT) | instid1(VALU_DEP_3)
	v_fma_f32 v25, -0.5, v25, v1
	v_add_f32_e32 v26, v26, v15
	s_delay_alu instid0(VALU_DEP_3) | instskip(NEXT) | instid1(VALU_DEP_2)
	v_dual_add_f32 v34, v2, v12 :: v_dual_fmac_f32 v1, -0.5, v31
	v_dual_fmamk_f32 v33, v27, 0xbf737871, v25 :: v_dual_add_f32 v26, v26, v19
	v_fmac_f32_e32 v25, 0x3f737871, v27
	s_delay_alu instid0(VALU_DEP_2) | instskip(NEXT) | instid1(VALU_DEP_3)
	v_fmac_f32_e32 v33, 0xbf167918, v28
	v_dual_sub_f32 v29, v11, v15 :: v_dual_add_f32 v26, v26, v21
	v_sub_f32_e32 v32, v15, v11
	v_sub_f32_e32 v15, v15, v19
	v_sub_f32_e32 v11, v11, v21
	s_delay_alu instid0(VALU_DEP_4) | instskip(SKIP_3) | instid1(VALU_DEP_4)
	v_dual_add_f32 v29, v29, v30 :: v_dual_sub_f32 v30, v19, v21
	v_fmamk_f32 v31, v28, 0x3f737871, v1
	v_fmac_f32_e32 v25, 0x3f167918, v28
	v_fmac_f32_e32 v1, 0xbf737871, v28
	v_dual_add_f32 v28, v34, v16 :: v_dual_fmac_f32 v33, 0x3e9e377a, v29
	v_sub_f32_e32 v19, v12, v16
	s_delay_alu instid0(VALU_DEP_4) | instskip(NEXT) | instid1(VALU_DEP_3)
	v_dual_add_f32 v30, v32, v30 :: v_dual_fmac_f32 v25, 0x3e9e377a, v29
	v_add_f32_e32 v21, v28, v20
	v_add_f32_e32 v28, v12, v22
	v_sub_f32_e32 v12, v16, v12
	v_add_f32_e32 v35, v16, v20
	v_dual_fmac_f32 v31, 0xbf167918, v27 :: v_dual_sub_f32 v16, v20, v22
	v_sub_f32_e32 v34, v9, v13
	s_delay_alu instid0(VALU_DEP_3) | instskip(SKIP_1) | instid1(VALU_DEP_4)
	v_fma_f32 v32, -0.5, v35, v2
	v_fmac_f32_e32 v2, -0.5, v28
	v_dual_add_f32 v12, v12, v16 :: v_dual_fmac_f32 v31, 0x3e9e377a, v30
	v_add_f32_e32 v16, v7, v9
	s_delay_alu instid0(VALU_DEP_3) | instskip(SKIP_3) | instid1(VALU_DEP_4)
	v_fmamk_f32 v28, v15, 0xbf737871, v2
	v_fmac_f32_e32 v1, 0x3f167918, v27
	v_fmamk_f32 v27, v11, 0x3f737871, v32
	v_fmac_f32_e32 v32, 0xbf737871, v11
	v_fmac_f32_e32 v28, 0x3f167918, v11
	s_delay_alu instid0(VALU_DEP_4) | instskip(NEXT) | instid1(VALU_DEP_2)
	v_dual_fmac_f32 v1, 0x3e9e377a, v30 :: v_dual_sub_f32 v30, v7, v5
	v_fmac_f32_e32 v28, 0x3e9e377a, v12
	v_dual_sub_f32 v29, v22, v20 :: v_dual_fmac_f32 v2, 0x3f737871, v15
	v_dual_add_f32 v20, v3, v5 :: v_dual_fmac_f32 v27, 0x3f167918, v15
	s_delay_alu instid0(VALU_DEP_2) | instskip(NEXT) | instid1(VALU_DEP_3)
	v_dual_fmac_f32 v32, 0xbf167918, v15 :: v_dual_add_f32 v19, v19, v29
	v_fmac_f32_e32 v2, 0xbf167918, v11
	s_delay_alu instid0(VALU_DEP_3) | instskip(SKIP_3) | instid1(VALU_DEP_4)
	v_add_f32_e32 v15, v20, v7
	v_add_f32_e32 v21, v21, v22
	v_sub_f32_e32 v22, v13, v9
	v_fmac_f32_e32 v32, 0x3e9e377a, v19
	v_dual_fmac_f32 v2, 0x3e9e377a, v12 :: v_dual_add_f32 v11, v15, v9
	v_fma_f32 v15, -0.5, v16, v3
	v_add_f32_e32 v16, v5, v13
	s_delay_alu instid0(VALU_DEP_1) | instskip(NEXT) | instid1(VALU_DEP_4)
	v_dual_fmac_f32 v3, -0.5, v16 :: v_dual_sub_f32 v16, v5, v7
	v_dual_add_f32 v20, v11, v13 :: v_dual_fmac_f32 v27, 0x3e9e377a, v19
	v_sub_f32_e32 v19, v6, v14
	v_sub_f32_e32 v11, v8, v10
	s_delay_alu instid0(VALU_DEP_4)
	v_add_f32_e32 v16, v16, v22
	v_add_f32_e32 v22, v30, v34
	v_sub_f32_e32 v30, v10, v14
	v_fmamk_f32 v12, v19, 0xbf737871, v15
	v_fmac_f32_e32 v15, 0x3f737871, v19
	v_fmamk_f32 v29, v11, 0x3f737871, v3
	v_fmac_f32_e32 v3, 0xbf737871, v11
	s_delay_alu instid0(VALU_DEP_4) | instskip(NEXT) | instid1(VALU_DEP_4)
	v_dual_sub_f32 v7, v7, v9 :: v_dual_fmac_f32 v12, 0xbf167918, v11
	v_fmac_f32_e32 v15, 0x3f167918, v11
	v_add_f32_e32 v11, v8, v10
	s_delay_alu instid0(VALU_DEP_4)
	v_fmac_f32_e32 v3, 0x3f167918, v19
	v_sub_f32_e32 v9, v6, v8
	v_fmac_f32_e32 v12, 0x3e9e377a, v16
	v_dual_fmac_f32 v15, 0x3e9e377a, v16 :: v_dual_add_f32 v16, v6, v14
	v_fmac_f32_e32 v29, 0xbf167918, v19
	v_fma_f32 v19, -0.5, v11, v4
	v_add_f32_e32 v11, v4, v6
	v_sub_f32_e32 v6, v8, v6
	s_delay_alu instid0(VALU_DEP_4) | instskip(SKIP_2) | instid1(VALU_DEP_4)
	v_dual_fmac_f32 v4, -0.5, v16 :: v_dual_fmac_f32 v29, 0x3e9e377a, v22
	v_fmac_f32_e32 v3, 0x3e9e377a, v22
	v_sub_f32_e32 v16, v14, v10
	v_dual_add_f32 v6, v6, v30 :: v_dual_sub_f32 v5, v5, v13
	s_delay_alu instid0(VALU_DEP_4) | instskip(SKIP_1) | instid1(VALU_DEP_2)
	v_fmamk_f32 v22, v7, 0xbf737871, v4
	v_fmac_f32_e32 v4, 0x3f737871, v7
	v_dual_fmac_f32 v22, 0x3f167918, v5 :: v_dual_add_f32 v9, v9, v16
	s_delay_alu instid0(VALU_DEP_2) | instskip(NEXT) | instid1(VALU_DEP_2)
	v_fmac_f32_e32 v4, 0xbf167918, v5
	v_fmac_f32_e32 v22, 0x3e9e377a, v6
	s_delay_alu instid0(VALU_DEP_2) | instskip(NEXT) | instid1(VALU_DEP_2)
	v_fmac_f32_e32 v4, 0x3e9e377a, v6
	v_mul_f32_e32 v30, 0xbf737871, v22
	s_delay_alu instid0(VALU_DEP_2) | instskip(NEXT) | instid1(VALU_DEP_2)
	v_mul_f32_e32 v38, 0xbe9e377a, v4
	v_fmac_f32_e32 v30, 0x3e9e377a, v29
	s_delay_alu instid0(VALU_DEP_2) | instskip(SKIP_1) | instid1(VALU_DEP_2)
	v_dual_fmamk_f32 v13, v5, 0x3f737871, v19 :: v_dual_fmac_f32 v38, 0x3f737871, v3
	v_fmac_f32_e32 v19, 0xbf737871, v5
	v_fmac_f32_e32 v13, 0x3f167918, v7
	s_delay_alu instid0(VALU_DEP_1) | instskip(NEXT) | instid1(VALU_DEP_1)
	v_fmac_f32_e32 v13, 0x3e9e377a, v9
	v_dual_add_f32 v5, v11, v8 :: v_dual_mul_f32 v16, 0xbf167918, v13
	s_delay_alu instid0(VALU_DEP_1) | instskip(NEXT) | instid1(VALU_DEP_1)
	v_dual_add_f32 v5, v5, v10 :: v_dual_fmac_f32 v16, 0x3f4f1bbd, v12
	v_add_f32_e32 v35, v5, v14
	v_add_f32_e32 v5, v26, v20
	v_mul_f32_e32 v34, 0xbf737871, v4
	v_fmac_f32_e32 v19, 0xbf167918, v7
	s_delay_alu instid0(VALU_DEP_2) | instskip(NEXT) | instid1(VALU_DEP_2)
	v_dual_add_f32 v7, v33, v16 :: v_dual_fmac_f32 v34, 0xbe9e377a, v3
	v_dual_fmac_f32 v19, 0x3e9e377a, v9 :: v_dual_add_f32 v6, v21, v35
	v_mul_f32_e32 v37, 0x3f4f1bbd, v13
	v_dual_sub_f32 v3, v26, v20 :: v_dual_sub_f32 v20, v31, v30
	s_delay_alu instid0(VALU_DEP_3) | instskip(SKIP_1) | instid1(VALU_DEP_4)
	v_mul_f32_e32 v39, 0xbf4f1bbd, v19
	v_dual_mul_f32 v36, 0xbf167918, v19 :: v_dual_add_f32 v9, v31, v30
	v_dual_fmac_f32 v37, 0x3f167918, v12 :: v_dual_sub_f32 v4, v21, v35
	s_delay_alu instid0(VALU_DEP_3) | instskip(SKIP_2) | instid1(VALU_DEP_3)
	v_dual_fmac_f32 v39, 0x3f167918, v15 :: v_dual_add_f32 v12, v2, v38
	v_dual_sub_f32 v2, v2, v38 :: v_dual_mul_f32 v29, 0x3f737871, v29
	v_mad_u32_u24 v19, 0x7d0, v23, 0
	v_dual_add_f32 v14, v32, v39 :: v_dual_add_f32 v11, v1, v34
	v_fmac_f32_e32 v36, 0xbf4f1bbd, v15
	s_delay_alu instid0(VALU_DEP_4) | instskip(SKIP_2) | instid1(VALU_DEP_3)
	v_dual_fmac_f32 v29, 0x3e9e377a, v22 :: v_dual_sub_f32 v26, v32, v39
	v_add_f32_e32 v8, v27, v37
	v_lshl_add_u32 v22, v24, 3, v19
	v_dual_add_f32 v13, v25, v36 :: v_dual_add_f32 v10, v28, v29
	v_dual_sub_f32 v15, v33, v16 :: v_dual_sub_f32 v16, v27, v37
	v_sub_f32_e32 v21, v28, v29
	v_sub_f32_e32 v1, v1, v34
	;; [unrolled: 1-line block ×3, first 2 shown]
	ds_store_2addr_b64 v22, v[5:6], v[7:8] offset1:25
	ds_store_2addr_b64 v22, v[9:10], v[11:12] offset0:50 offset1:75
	ds_store_2addr_b64 v22, v[13:14], v[3:4] offset0:100 offset1:125
	;; [unrolled: 1-line block ×4, first 2 shown]
	global_wb scope:SCOPE_SE
	s_wait_dscnt 0x0
	s_barrier_signal -1
	s_barrier_wait -1
	global_inv scope:SCOPE_SE
	s_and_saveexec_b32 s3, s2
	s_cbranch_execz .LBB0_24
; %bb.23:
	v_mul_lo_u16 v1, v23, 26
	s_load_b128 s[0:3], s[0:1], 0x0
	s_delay_alu instid0(VALU_DEP_1) | instskip(NEXT) | instid1(VALU_DEP_1)
	v_lshrrev_b16 v1, 8, v1
	v_mul_lo_u16 v1, v1, 10
	s_delay_alu instid0(VALU_DEP_1) | instskip(NEXT) | instid1(VALU_DEP_1)
	v_sub_nc_u16 v1, v23, v1
	v_and_b32_e32 v20, 0xff, v1
	s_delay_alu instid0(VALU_DEP_1) | instskip(SKIP_1) | instid1(VALU_DEP_2)
	v_mul_u32_u24_e32 v1, 9, v20
	v_or_b32_e32 v25, 0x50, v20
	v_lshlrev_b32_e32 v21, 3, v1
	s_delay_alu instid0(VALU_DEP_2)
	v_mul_lo_u32 v25, v18, v25
	s_wait_kmcnt 0x0
	s_clause 0x3
	global_load_b128 v[1:4], v21, s[0:1]
	global_load_b128 v[13:16], v21, s[0:1] offset:16
	global_load_b128 v[9:12], v21, s[0:1] offset:32
	;; [unrolled: 1-line block ×3, first 2 shown]
	v_add_nc_u32_e32 v22, 0x5a, v20
	v_add_nc_u32_e32 v26, 0x46, v20
	v_add_nc_u32_e32 v27, 60, v20
	global_load_b64 v[37:38], v21, s[0:1] offset:64
	v_add_nc_u32_e32 v21, 50, v20
	v_mul_lo_u32 v22, v18, v22
	v_mul_lo_u32 v26, v18, v26
	v_and_b32_e32 v29, 0xff, v25
	v_lshrrev_b32_e32 v25, 5, v25
	v_mul_lo_u32 v27, v18, v27
	v_mul_lo_u32 v21, v18, v21
	s_delay_alu instid0(VALU_DEP_4)
	v_lshlrev_b32_e32 v29, 3, v29
	v_and_b32_e32 v28, 0xff, v22
	v_lshrrev_b32_e32 v22, 5, v22
	v_and_b32_e32 v30, 0xff, v26
	v_lshrrev_b32_e32 v26, 5, v26
	v_and_b32_e32 v25, 0x7f8, v25
	v_lshlrev_b32_e32 v28, 3, v28
	v_and_b32_e32 v22, 0x7f8, v22
	s_clause 0x1
	global_load_b64 v[39:40], v28, s[2:3]
	global_load_b64 v[41:42], v22, s[2:3] offset:2048
	v_and_b32_e32 v22, 0xff, v27
	v_lshlrev_b32_e32 v28, 3, v30
	s_clause 0x1
	global_load_b64 v[43:44], v29, s[2:3]
	global_load_b64 v[45:46], v25, s[2:3] offset:2048
	v_and_b32_e32 v25, 0x7f8, v26
	v_lshrrev_b32_e32 v26, 5, v27
	v_and_b32_e32 v27, 0xff, v21
	v_lshrrev_b32_e32 v21, 5, v21
	v_lshlrev_b32_e32 v22, 3, v22
	s_clause 0x1
	global_load_b64 v[47:48], v28, s[2:3]
	global_load_b64 v[49:50], v25, s[2:3] offset:2048
	v_and_b32_e32 v25, 0x7f8, v26
	v_lshlrev_b32_e32 v26, 3, v27
	v_and_b32_e32 v21, 0x7f8, v21
	s_clause 0x3
	global_load_b64 v[51:52], v22, s[2:3]
	global_load_b64 v[53:54], v25, s[2:3] offset:2048
	global_load_b64 v[55:56], v26, s[2:3]
	global_load_b64 v[57:58], v21, s[2:3] offset:2048
	v_add_nc_u32_e32 v21, 40, v20
	v_add_nc_u32_e32 v22, 30, v20
	;; [unrolled: 1-line block ×4, first 2 shown]
	v_mul_lo_u32 v26, v18, v20
	v_mul_lo_u32 v21, v18, v21
	v_mul_lo_u32 v22, v18, v22
	v_mul_lo_u32 v25, v18, v25
	v_mul_lo_u32 v18, v18, v27
	v_and_b32_e32 v0, 0xffff, v0
	v_and_b32_e32 v27, 0xff, v26
	;; [unrolled: 1-line block ×3, first 2 shown]
	v_lshrrev_b32_e32 v21, 5, v21
	v_and_b32_e32 v29, 0xff, v22
	v_lshrrev_b32_e32 v22, 5, v22
	v_and_b32_e32 v30, 0xff, v25
	v_lshlrev_b32_e32 v28, 3, v28
	v_lshrrev_b32_e32 v25, 5, v25
	v_and_b32_e32 v21, 0x7f8, v21
	v_lshlrev_b32_e32 v29, 3, v29
	v_and_b32_e32 v22, 0x7f8, v22
	v_and_b32_e32 v31, 0xff, v18
	v_lshrrev_b32_e32 v18, 5, v18
	s_clause 0x1
	global_load_b64 v[59:60], v28, s[2:3]
	global_load_b64 v[61:62], v21, s[2:3] offset:2048
	v_lshlrev_b32_e32 v21, 3, v30
	v_and_b32_e32 v25, 0x7f8, v25
	s_clause 0x1
	global_load_b64 v[63:64], v29, s[2:3]
	global_load_b64 v[65:66], v22, s[2:3] offset:2048
	v_lshrrev_b32_e32 v22, 5, v26
	v_lshlrev_b32_e32 v26, 3, v31
	v_and_b32_e32 v18, 0x7f8, v18
	s_clause 0x1
	global_load_b64 v[67:68], v21, s[2:3]
	global_load_b64 v[69:70], v25, s[2:3] offset:2048
	v_lshlrev_b32_e32 v21, 3, v27
	v_and_b32_e32 v22, 0x7f8, v22
	s_clause 0x3
	global_load_b64 v[71:72], v26, s[2:3]
	global_load_b64 v[73:74], v18, s[2:3] offset:2048
	global_load_b64 v[75:76], v21, s[2:3]
	global_load_b64 v[77:78], v22, s[2:3] offset:2048
	v_mul_i32_i24_e32 v18, 0xfffff8f8, v23
	v_lshlrev_b32_e32 v21, 3, v24
	v_mul_u32_u24_e32 v0, 0x107, v0
	s_delay_alu instid0(VALU_DEP_2) | instskip(NEXT) | instid1(VALU_DEP_2)
	v_add3_u32 v18, v19, v18, v21
	v_lshrrev_b32_e32 v0, 16, v0
	s_delay_alu instid0(VALU_DEP_2) | instskip(NEXT) | instid1(VALU_DEP_2)
	v_add_nc_u32_e32 v19, 0xf80, v18
	v_mul_lo_u16 v0, 0x64, v0
	v_add_nc_u32_e32 v30, 0x3e80, v18
	v_add_nc_u32_e32 v33, 0x2ec0, v18
	ds_load_2addr_b64 v[21:24], v19 offset0:4 offset1:254
	v_add_nc_u32_e32 v19, 0x1f40, v18
	ds_load_2addr_b64 v[25:28], v19 offset1:250
	s_wait_loadcnt_dscnt 0x1801
	v_mul_f32_e32 v87, v4, v21
	s_wait_loadcnt 0x17
	v_dual_mul_f32 v88, v4, v22 :: v_dual_mul_f32 v89, v14, v24
	v_mul_f32_e32 v4, v14, v23
	s_delay_alu instid0(VALU_DEP_3) | instskip(NEXT) | instid1(VALU_DEP_3)
	v_fma_f32 v87, v3, v22, -v87
	v_dual_fmac_f32 v88, v3, v21 :: v_dual_fmac_f32 v89, v13, v23
	s_delay_alu instid0(VALU_DEP_3) | instskip(SKIP_4) | instid1(VALU_DEP_2)
	v_fma_f32 v23, v13, v24, -v4
	s_wait_dscnt 0x0
	v_mul_f32_e32 v24, v16, v26
	v_mul_f32_e32 v21, v16, v25
	s_wait_loadcnt 0x16
	v_dual_fmac_f32 v24, v15, v25 :: v_dual_mul_f32 v25, v10, v28
	v_mul_f32_e32 v10, v10, v27
	s_delay_alu instid0(VALU_DEP_3) | instskip(NEXT) | instid1(VALU_DEP_3)
	v_fma_f32 v26, v15, v26, -v21
	v_fmac_f32_e32 v25, v9, v27
	s_delay_alu instid0(VALU_DEP_3) | instskip(SKIP_2) | instid1(VALU_DEP_2)
	v_fma_f32 v27, v9, v28, -v10
	v_and_b32_e32 v29, 0xffff, v0
	v_add_nc_u32_e32 v0, s6, v17
	v_add_nc_u32_e32 v81, v20, v29
	ds_load_2addr_b64 v[17:20], v18 offset1:250
	ds_load_2addr_b64 v[29:32], v30 offset1:250
	ds_load_2addr_b64 v[33:36], v33 offset0:4 offset1:254
	v_add_nc_u32_e32 v82, 10, v81
	v_mad_co_u64_u32 v[79:80], null, s8, v81, v[0:1]
	v_dual_mov_b32 v80, 0 :: v_dual_add_nc_u32 v83, 20, v81
	s_delay_alu instid0(VALU_DEP_3) | instskip(SKIP_1) | instid1(VALU_DEP_3)
	v_mad_co_u64_u32 v[3:4], null, s8, v82, v[0:1]
	v_add_nc_u32_e32 v84, 30, v81
	v_mad_co_u64_u32 v[13:14], null, s8, v83, v[0:1]
	s_delay_alu instid0(VALU_DEP_4) | instskip(SKIP_1) | instid1(VALU_DEP_4)
	v_mov_b32_e32 v4, v80
	v_lshlrev_b64_e32 v[9:10], 3, v[79:80]
	v_mad_co_u64_u32 v[15:16], null, s8, v84, v[0:1]
	v_mov_b32_e32 v14, v80
	s_delay_alu instid0(VALU_DEP_4)
	v_lshlrev_b64_e32 v[3:4], 3, v[3:4]
	v_mov_b32_e32 v16, v80
	s_wait_dscnt 0x0
	v_mul_f32_e32 v28, v33, v12
	v_add_co_u32 v9, vcc_lo, s4, v9
	v_mul_f32_e32 v79, v34, v12
	v_lshlrev_b64_e32 v[12:13], 3, v[13:14]
	s_wait_alu 0xfffd
	v_add_co_ci_u32_e32 v10, vcc_lo, s5, v10, vcc_lo
	v_add_co_u32 v3, vcc_lo, s4, v3
	v_lshlrev_b64_e32 v[14:15], 3, v[15:16]
	v_fma_f32 v16, v34, v11, -v28
	s_wait_loadcnt 0x15
	v_mul_f32_e32 v28, v36, v6
	v_mul_f32_e32 v6, v35, v6
	s_wait_alu 0xfffd
	v_add_co_ci_u32_e32 v4, vcc_lo, s5, v4, vcc_lo
	v_fmac_f32_e32 v79, v33, v11
	v_add_co_u32 v11, vcc_lo, s4, v12
	s_wait_alu 0xfffd
	v_add_co_ci_u32_e32 v12, vcc_lo, s5, v13, vcc_lo
	v_mul_f32_e32 v13, v29, v8
	v_mul_f32_e32 v8, v30, v8
	v_fmac_f32_e32 v28, v35, v5
	v_fma_f32 v5, v36, v5, -v6
	s_wait_loadcnt 0x14
	v_mul_f32_e32 v6, v32, v38
	v_mul_f32_e32 v34, v31, v38
	s_wait_loadcnt 0x12
	v_mul_f32_e32 v36, v40, v42
	v_fma_f32 v13, v30, v7, -v13
	v_fmac_f32_e32 v8, v29, v7
	v_fmac_f32_e32 v6, v31, v37
	v_fma_f32 v7, v32, v37, -v34
	v_mul_f32_e32 v37, v39, v42
	s_wait_loadcnt 0x10
	v_mul_f32_e32 v82, v44, v46
	v_fma_f32 v36, v39, v41, -v36
	v_mul_f32_e32 v39, v43, v46
	s_wait_loadcnt 0xe
	v_dual_mul_f32 v46, v48, v50 :: v_dual_mul_f32 v33, v2, v20
	v_mul_f32_e32 v2, v2, v19
	v_dual_sub_f32 v38, v23, v7 :: v_dual_add_nc_u32 v85, 40, v81
	v_dual_sub_f32 v42, v23, v27 :: v_dual_fmac_f32 v39, v44, v45
	v_mul_f32_e32 v44, v47, v50
	v_fma_f32 v46, v47, v49, -v46
	s_wait_loadcnt 0xc
	v_mul_f32_e32 v47, v51, v54
	v_fmac_f32_e32 v33, v1, v19
	v_sub_f32_e32 v19, v13, v16
	v_dual_sub_f32 v31, v89, v25 :: v_dual_sub_f32 v32, v6, v28
	s_delay_alu instid0(VALU_DEP_4)
	v_fmac_f32_e32 v47, v52, v53
	v_fmac_f32_e32 v37, v40, v41
	v_dual_sub_f32 v40, v7, v5 :: v_dual_add_f32 v83, v88, v8
	v_fma_f32 v43, v43, v45, -v82
	v_sub_f32_e32 v45, v89, v6
	v_mad_co_u64_u32 v[21:22], null, s8, v85, v[0:1]
	v_fma_f32 v1, v1, v20, -v2
	v_sub_f32_e32 v2, v87, v26
	v_mul_f32_e32 v82, v52, v54
	s_wait_loadcnt 0xa
	v_dual_mul_f32 v54, v56, v58 :: v_dual_add_f32 v31, v31, v32
	v_mul_f32_e32 v52, v55, v58
	v_add_nc_u32_e32 v86, 50, v81
	v_add_f32_e32 v20, v26, v16
	v_dual_sub_f32 v50, v25, v28 :: v_dual_sub_f32 v85, v28, v6
	v_fmac_f32_e32 v44, v48, v49
	v_sub_f32_e32 v48, v88, v24
	v_sub_f32_e32 v49, v8, v79
	v_add_f32_e32 v58, v24, v79
	v_fma_f32 v54, v55, v57, -v54
	v_sub_f32_e32 v55, v26, v87
	v_add_f32_e32 v2, v2, v19
	v_dual_sub_f32 v19, v27, v23 :: v_dual_add_f32 v40, v42, v40
	v_add_f32_e32 v42, v23, v7
	v_dual_add_f32 v23, v1, v23 :: v_dual_fmac_f32 v52, v56, v57
	v_add_f32_e32 v57, v87, v13
	v_dual_sub_f32 v29, v88, v8 :: v_dual_add_f32 v84, v18, v87
	v_fma_f32 v20, -0.5, v20, v18
	v_add_f32_e32 v48, v48, v49
	s_delay_alu instid0(VALU_DEP_4)
	v_fma_f32 v18, -0.5, v57, v18
	v_fma_f32 v57, -0.5, v83, v17
	v_sub_f32_e32 v49, v79, v8
	v_fma_f32 v58, -0.5, v58, v17
	v_add_f32_e32 v17, v17, v88
	v_sub_f32_e32 v88, v24, v88
	v_sub_f32_e32 v34, v27, v5
	v_add_f32_e32 v41, v27, v5
	v_add_f32_e32 v23, v23, v27
	s_wait_loadcnt 0x2
	v_dual_mul_f32 v27, v71, v74 :: v_dual_sub_f32 v32, v5, v7
	v_add_f32_e32 v49, v88, v49
	v_dual_sub_f32 v56, v16, v13 :: v_dual_add_f32 v35, v25, v28
	v_sub_f32_e32 v83, v25, v89
	s_delay_alu instid0(VALU_DEP_4)
	v_add_f32_e32 v19, v19, v32
	v_fma_f32 v51, v51, v53, -v82
	v_dual_sub_f32 v82, v87, v13 :: v_dual_add_f32 v87, v89, v6
	v_add_f32_e32 v89, v33, v89
	v_dual_add_f32 v55, v55, v56 :: v_dual_mul_f32 v56, v60, v62
	v_dual_mul_f32 v62, v59, v62 :: v_dual_fmac_f32 v27, v72, v73
	v_dual_sub_f32 v30, v24, v79 :: v_dual_sub_f32 v53, v26, v16
	v_add_f32_e32 v83, v83, v85
	v_fma_f32 v35, -0.5, v35, v33
	v_fma_f32 v33, -0.5, v87, v33
	v_mul_f32_e32 v85, v64, v66
	v_mul_f32_e32 v32, v63, v66
	v_fma_f32 v41, -0.5, v41, v1
	v_dual_mul_f32 v66, v67, v70 :: v_dual_add_f32 v17, v17, v24
	v_fma_f32 v1, -0.5, v42, v1
	v_mul_f32_e32 v42, v68, v70
	v_add_f32_e32 v26, v84, v26
	v_dual_mul_f32 v70, v72, v74 :: v_dual_add_f32 v25, v89, v25
	s_wait_loadcnt 0x0
	v_dual_mul_f32 v74, v75, v78 :: v_dual_add_f32 v17, v17, v79
	v_fma_f32 v56, v59, v61, -v56
	v_fmac_f32_e32 v62, v60, v61
	v_fmamk_f32 v61, v29, 0xbf737871, v20
	v_fma_f32 v59, v63, v65, -v85
	v_dual_fmac_f32 v74, v77, v76 :: v_dual_add_f32 v5, v23, v5
	v_dual_fmamk_f32 v63, v38, 0x3f737871, v35 :: v_dual_fmac_f32 v32, v64, v65
	v_fmamk_f32 v65, v82, 0x3f737871, v58
	v_fma_f32 v42, v67, v69, -v42
	v_fmamk_f32 v67, v30, 0x3f737871, v18
	v_dual_fmac_f32 v66, v68, v69 :: v_dual_fmac_f32 v35, 0xbf737871, v38
	v_dual_fmamk_f32 v68, v34, 0xbf737871, v33 :: v_dual_add_f32 v23, v25, v28
	v_dual_fmamk_f32 v69, v50, 0x3f737871, v1 :: v_dual_fmac_f32 v20, 0x3f737871, v29
	v_dual_add_f32 v16, v26, v16 :: v_dual_fmac_f32 v61, 0xbf167918, v30
	v_fmamk_f32 v64, v45, 0xbf737871, v41
	v_fma_f32 v60, v71, v73, -v70
	v_dual_fmac_f32 v18, 0xbf737871, v30 :: v_dual_add_f32 v5, v5, v7
	v_fmac_f32_e32 v33, 0x3f737871, v34
	v_fmac_f32_e32 v67, 0xbf167918, v29
	v_dual_fmac_f32 v69, 0xbf167918, v45 :: v_dual_add_f32 v6, v23, v6
	v_dual_add_f32 v13, v16, v13 :: v_dual_fmac_f32 v64, 0xbf167918, v50
	v_add_f32_e32 v7, v17, v8
	v_fmamk_f32 v70, v53, 0xbf737871, v57
	v_fmac_f32_e32 v57, 0x3f737871, v53
	v_fmac_f32_e32 v20, 0x3f167918, v30
	;; [unrolled: 1-line block ×4, first 2 shown]
	v_dual_fmac_f32 v61, 0x3e9e377a, v2 :: v_dual_fmac_f32 v64, 0x3e9e377a, v40
	v_fmac_f32_e32 v57, 0xbf167918, v82
	v_dual_fmac_f32 v67, 0x3e9e377a, v55 :: v_dual_fmac_f32 v20, 0x3e9e377a, v2
	v_sub_f32_e32 v2, v13, v5
	v_add_f32_e32 v13, v13, v5
	v_dual_fmac_f32 v33, 0xbf167918, v38 :: v_dual_fmac_f32 v58, 0xbf167918, v53
	v_dual_fmac_f32 v63, 0x3f167918, v34 :: v_dual_fmac_f32 v18, 0x3f167918, v29
	v_fmac_f32_e32 v1, 0x3f167918, v45
	s_delay_alu instid0(VALU_DEP_3) | instskip(SKIP_4) | instid1(VALU_DEP_3)
	v_dual_fmac_f32 v33, 0x3e9e377a, v83 :: v_dual_sub_f32 v8, v7, v6
	v_add_f32_e32 v7, v7, v6
	v_fmac_f32_e32 v70, 0x3f167918, v82
	v_dual_mul_f32 v24, v76, v78 :: v_dual_fmac_f32 v41, 0x3f737871, v45
	v_dual_fmac_f32 v65, 0x3f167918, v53 :: v_dual_fmac_f32 v68, 0x3f167918, v38
	v_dual_fmac_f32 v63, 0x3e9e377a, v31 :: v_dual_fmac_f32 v70, 0x3e9e377a, v49
	;; [unrolled: 1-line block ×3, first 2 shown]
	v_dual_fmac_f32 v1, 0x3e9e377a, v19 :: v_dual_mul_f32 v30, v7, v74
	v_dual_mul_f32 v16, 0xbf4f1bbd, v64 :: v_dual_mul_f32 v5, v13, v74
	v_fmac_f32_e32 v41, 0x3f167918, v50
	v_dual_fmac_f32 v65, 0x3e9e377a, v48 :: v_dual_fmac_f32 v68, 0x3e9e377a, v83
	s_delay_alu instid0(VALU_DEP_4) | instskip(NEXT) | instid1(VALU_DEP_4)
	v_mul_f32_e32 v26, 0xbf737871, v1
	v_fmac_f32_e32 v16, 0x3f167918, v63
	v_mul_f32_e32 v19, 0xbe9e377a, v69
	v_mul_f32_e32 v25, 0x3e9e377a, v1
	;; [unrolled: 1-line block ×3, first 2 shown]
	v_fma_f32 v24, v75, v77, -v24
	v_dual_add_f32 v38, v61, v16 :: v_dual_fmac_f32 v35, 0xbf167918, v34
	v_mul_f32_e32 v6, v8, v52
	s_delay_alu instid0(VALU_DEP_4)
	v_dual_fmac_f32 v1, v8, v54 :: v_dual_sub_f32 v8, v61, v16
	v_fmac_f32_e32 v19, 0x3f737871, v68
	v_fmac_f32_e32 v41, 0x3e9e377a, v40
	v_dual_fmac_f32 v35, 0x3e9e377a, v31 :: v_dual_fmac_f32 v26, 0x3e9e377a, v33
	v_fma_f32 v2, v2, v54, -v6
	v_fma_f32 v6, v13, v24, -v30
	v_fmac_f32_e32 v5, v7, v24
	v_dual_sub_f32 v24, v67, v19 :: v_dual_mul_f32 v29, 0xbf167918, v41
	v_mul_f32_e32 v28, 0x3f4f1bbd, v41
	v_dual_fmac_f32 v18, 0x3e9e377a, v55 :: v_dual_fmac_f32 v57, 0x3e9e377a, v49
	v_fmac_f32_e32 v25, 0x3f737871, v33
	s_delay_alu instid0(VALU_DEP_4) | instskip(NEXT) | instid1(VALU_DEP_4)
	v_fmac_f32_e32 v29, 0x3f4f1bbd, v35
	v_fmac_f32_e32 v28, 0x3f167918, v35
	v_mul_f32_e32 v23, 0xbf737871, v69
	global_store_b64 v[9:10], v[5:6], off
	v_mul_f32_e32 v5, v8, v37
	v_mov_b32_e32 v22, v80
	v_sub_f32_e32 v34, v20, v28
	v_fmac_f32_e32 v23, 0xbe9e377a, v68
	v_sub_f32_e32 v33, v57, v26
	s_delay_alu instid0(VALU_DEP_4) | instskip(NEXT) | instid1(VALU_DEP_4)
	v_lshlrev_b64_e32 v[21:22], 3, v[21:22]
	v_dual_mul_f32 v16, v34, v47 :: v_dual_add_f32 v49, v57, v26
	v_dual_add_f32 v26, v58, v29 :: v_dual_mul_f32 v17, 0xbf167918, v64
	v_sub_f32_e32 v30, v70, v23
	v_add_f32_e32 v45, v70, v23
	s_delay_alu instid0(VALU_DEP_2) | instskip(NEXT) | instid1(VALU_DEP_4)
	v_mul_f32_e32 v10, v30, v39
	v_dual_fmac_f32 v17, 0xbf4f1bbd, v63 :: v_dual_add_f32 v48, v18, v25
	s_delay_alu instid0(VALU_DEP_1)
	v_sub_f32_e32 v13, v65, v17
	v_add_f32_e32 v40, v65, v17
	v_sub_f32_e32 v31, v18, v25
	v_dual_add_f32 v41, v67, v19 :: v_dual_mul_f32 v18, v38, v62
	v_dual_sub_f32 v35, v58, v29 :: v_dual_add_f32 v20, v20, v28
	v_mul_f32_e32 v6, v13, v37
	v_dual_mul_f32 v17, v33, v44 :: v_dual_mul_f32 v28, v40, v62
	v_mul_f32_e32 v37, v27, v26
	s_delay_alu instid0(VALU_DEP_4)
	v_mul_f32_e32 v27, v27, v20
	v_dual_fmac_f32 v18, v40, v56 :: v_dual_mul_f32 v19, v35, v47
	v_fma_f32 v6, v8, v36, -v6
	v_fma_f32 v8, v24, v43, -v10
	;; [unrolled: 1-line block ×3, first 2 shown]
	v_fmac_f32_e32 v27, v60, v26
	v_fma_f32 v17, v34, v51, -v19
	v_fma_f32 v19, v38, v56, -v28
	;; [unrolled: 1-line block ×3, first 2 shown]
	v_fmac_f32_e32 v5, v13, v36
	v_mul_f32_e32 v23, v41, v32
	v_dual_mul_f32 v25, v66, v48 :: v_dual_fmac_f32 v16, v35, v51
	global_store_b64 v[3:4], v[27:28], off
	v_add_co_u32 v3, vcc_lo, s4, v14
	v_mad_co_u64_u32 v[13:14], null, s8, v86, v[0:1]
	v_mul_f32_e32 v7, v24, v39
	v_dual_mov_b32 v14, v80 :: v_dual_mul_f32 v29, v45, v32
	v_mul_f32_e32 v32, v66, v49
	v_fmac_f32_e32 v25, v42, v49
	v_fmac_f32_e32 v23, v45, v59
	s_wait_alu 0xfffd
	v_add_co_ci_u32_e32 v4, vcc_lo, s5, v15, vcc_lo
	v_fma_f32 v26, v42, v48, -v32
	v_fma_f32 v24, v41, v59, -v29
	s_clause 0x1
	global_store_b64 v[11:12], v[25:26], off
	global_store_b64 v[3:4], v[23:24], off
	v_add_nc_u32_e32 v11, 60, v81
	v_add_co_u32 v20, vcc_lo, s4, v21
	v_lshlrev_b64_e32 v[3:4], 3, v[13:14]
	v_add_nc_u32_e32 v13, 0x46, v81
	s_wait_alu 0xfffd
	v_add_co_ci_u32_e32 v21, vcc_lo, s5, v22, vcc_lo
	v_mad_co_u64_u32 v[11:12], null, s8, v11, v[0:1]
	v_dual_mov_b32 v12, v80 :: v_dual_add_nc_u32 v15, 0x50, v81
	v_mad_co_u64_u32 v[13:14], null, s8, v13, v[0:1]
	global_store_b64 v[20:21], v[18:19], off
	v_dual_mul_f32 v9, v31, v44 :: v_dual_add_nc_u32 v20, 0x5a, v81
	v_mov_b32_e32 v14, v80
	v_mad_co_u64_u32 v[18:19], null, s8, v15, v[0:1]
	v_lshlrev_b64_e32 v[11:12], 3, v[11:12]
	v_mov_b32_e32 v19, v80
	v_mad_co_u64_u32 v[20:21], null, s8, v20, v[0:1]
	v_add_co_u32 v3, vcc_lo, s4, v3
	v_lshlrev_b64_e32 v[13:14], 3, v[13:14]
	v_mov_b32_e32 v21, v80
	s_wait_alu 0xfffd
	v_add_co_ci_u32_e32 v4, vcc_lo, s5, v4, vcc_lo
	v_add_co_u32 v11, vcc_lo, s4, v11
	v_lshlrev_b64_e32 v[18:19], 3, v[18:19]
	s_wait_alu 0xfffd
	v_add_co_ci_u32_e32 v12, vcc_lo, s5, v12, vcc_lo
	v_add_co_u32 v13, vcc_lo, s4, v13
	v_lshlrev_b64_e32 v[20:21], 3, v[20:21]
	s_wait_alu 0xfffd
	v_add_co_ci_u32_e32 v14, vcc_lo, s5, v14, vcc_lo
	v_add_co_u32 v18, vcc_lo, s4, v18
	s_wait_alu 0xfffd
	v_add_co_ci_u32_e32 v19, vcc_lo, s5, v19, vcc_lo
	v_fmac_f32_e32 v9, v33, v46
	v_add_co_u32 v20, vcc_lo, s4, v20
	v_fmac_f32_e32 v7, v30, v43
	s_wait_alu 0xfffd
	v_add_co_ci_u32_e32 v21, vcc_lo, s5, v21, vcc_lo
	s_clause 0x4
	global_store_b64 v[3:4], v[1:2], off
	global_store_b64 v[11:12], v[16:17], off
	global_store_b64 v[13:14], v[9:10], off
	global_store_b64 v[18:19], v[7:8], off
	global_store_b64 v[20:21], v[5:6], off
.LBB0_24:
	s_nop 0
	s_sendmsg sendmsg(MSG_DEALLOC_VGPRS)
	s_endpgm
	.section	.rodata,"a",@progbits
	.p2align	6, 0x0
	.amdhsa_kernel fft_rtc_back_len100_factors_10_10_wgs_250_tpt_10_dim2_sp_ip_CI_sbcc_twdbase8_2step_dirReg_intrinsicReadWrite
		.amdhsa_group_segment_fixed_size 0
		.amdhsa_private_segment_fixed_size 0
		.amdhsa_kernarg_size 88
		.amdhsa_user_sgpr_count 2
		.amdhsa_user_sgpr_dispatch_ptr 0
		.amdhsa_user_sgpr_queue_ptr 0
		.amdhsa_user_sgpr_kernarg_segment_ptr 1
		.amdhsa_user_sgpr_dispatch_id 0
		.amdhsa_user_sgpr_private_segment_size 0
		.amdhsa_wavefront_size32 1
		.amdhsa_uses_dynamic_stack 0
		.amdhsa_enable_private_segment 0
		.amdhsa_system_sgpr_workgroup_id_x 1
		.amdhsa_system_sgpr_workgroup_id_y 0
		.amdhsa_system_sgpr_workgroup_id_z 0
		.amdhsa_system_sgpr_workgroup_info 0
		.amdhsa_system_vgpr_workitem_id 0
		.amdhsa_next_free_vgpr 90
		.amdhsa_next_free_sgpr 20
		.amdhsa_reserve_vcc 1
		.amdhsa_float_round_mode_32 0
		.amdhsa_float_round_mode_16_64 0
		.amdhsa_float_denorm_mode_32 3
		.amdhsa_float_denorm_mode_16_64 3
		.amdhsa_fp16_overflow 0
		.amdhsa_workgroup_processor_mode 1
		.amdhsa_memory_ordered 1
		.amdhsa_forward_progress 0
		.amdhsa_round_robin_scheduling 0
		.amdhsa_exception_fp_ieee_invalid_op 0
		.amdhsa_exception_fp_denorm_src 0
		.amdhsa_exception_fp_ieee_div_zero 0
		.amdhsa_exception_fp_ieee_overflow 0
		.amdhsa_exception_fp_ieee_underflow 0
		.amdhsa_exception_fp_ieee_inexact 0
		.amdhsa_exception_int_div_zero 0
	.end_amdhsa_kernel
	.text
.Lfunc_end0:
	.size	fft_rtc_back_len100_factors_10_10_wgs_250_tpt_10_dim2_sp_ip_CI_sbcc_twdbase8_2step_dirReg_intrinsicReadWrite, .Lfunc_end0-fft_rtc_back_len100_factors_10_10_wgs_250_tpt_10_dim2_sp_ip_CI_sbcc_twdbase8_2step_dirReg_intrinsicReadWrite
                                        ; -- End function
	.section	.AMDGPU.csdata,"",@progbits
; Kernel info:
; codeLenInByte = 5672
; NumSgprs: 22
; NumVgprs: 90
; ScratchSize: 0
; MemoryBound: 0
; FloatMode: 240
; IeeeMode: 1
; LDSByteSize: 0 bytes/workgroup (compile time only)
; SGPRBlocks: 2
; VGPRBlocks: 11
; NumSGPRsForWavesPerEU: 22
; NumVGPRsForWavesPerEU: 90
; Occupancy: 16
; WaveLimiterHint : 1
; COMPUTE_PGM_RSRC2:SCRATCH_EN: 0
; COMPUTE_PGM_RSRC2:USER_SGPR: 2
; COMPUTE_PGM_RSRC2:TRAP_HANDLER: 0
; COMPUTE_PGM_RSRC2:TGID_X_EN: 1
; COMPUTE_PGM_RSRC2:TGID_Y_EN: 0
; COMPUTE_PGM_RSRC2:TGID_Z_EN: 0
; COMPUTE_PGM_RSRC2:TIDIG_COMP_CNT: 0
	.text
	.p2alignl 7, 3214868480
	.fill 96, 4, 3214868480
	.type	__hip_cuid_765400128854f0d0,@object ; @__hip_cuid_765400128854f0d0
	.section	.bss,"aw",@nobits
	.globl	__hip_cuid_765400128854f0d0
__hip_cuid_765400128854f0d0:
	.byte	0                               ; 0x0
	.size	__hip_cuid_765400128854f0d0, 1

	.ident	"AMD clang version 19.0.0git (https://github.com/RadeonOpenCompute/llvm-project roc-6.4.0 25133 c7fe45cf4b819c5991fe208aaa96edf142730f1d)"
	.section	".note.GNU-stack","",@progbits
	.addrsig
	.addrsig_sym __hip_cuid_765400128854f0d0
	.amdgpu_metadata
---
amdhsa.kernels:
  - .args:
      - .actual_access:  read_only
        .address_space:  global
        .offset:         0
        .size:           8
        .value_kind:     global_buffer
      - .address_space:  global
        .offset:         8
        .size:           8
        .value_kind:     global_buffer
      - .actual_access:  read_only
        .address_space:  global
        .offset:         16
        .size:           8
        .value_kind:     global_buffer
      - .actual_access:  read_only
        .address_space:  global
        .offset:         24
        .size:           8
        .value_kind:     global_buffer
      - .offset:         32
        .size:           8
        .value_kind:     by_value
      - .actual_access:  read_only
        .address_space:  global
        .offset:         40
        .size:           8
        .value_kind:     global_buffer
      - .actual_access:  read_only
        .address_space:  global
        .offset:         48
        .size:           8
        .value_kind:     global_buffer
      - .offset:         56
        .size:           4
        .value_kind:     by_value
      - .actual_access:  read_only
        .address_space:  global
        .offset:         64
        .size:           8
        .value_kind:     global_buffer
      - .actual_access:  read_only
        .address_space:  global
        .offset:         72
        .size:           8
        .value_kind:     global_buffer
      - .address_space:  global
        .offset:         80
        .size:           8
        .value_kind:     global_buffer
    .group_segment_fixed_size: 0
    .kernarg_segment_align: 8
    .kernarg_segment_size: 88
    .language:       OpenCL C
    .language_version:
      - 2
      - 0
    .max_flat_workgroup_size: 250
    .name:           fft_rtc_back_len100_factors_10_10_wgs_250_tpt_10_dim2_sp_ip_CI_sbcc_twdbase8_2step_dirReg_intrinsicReadWrite
    .private_segment_fixed_size: 0
    .sgpr_count:     22
    .sgpr_spill_count: 0
    .symbol:         fft_rtc_back_len100_factors_10_10_wgs_250_tpt_10_dim2_sp_ip_CI_sbcc_twdbase8_2step_dirReg_intrinsicReadWrite.kd
    .uniform_work_group_size: 1
    .uses_dynamic_stack: false
    .vgpr_count:     90
    .vgpr_spill_count: 0
    .wavefront_size: 32
    .workgroup_processor_mode: 1
amdhsa.target:   amdgcn-amd-amdhsa--gfx1201
amdhsa.version:
  - 1
  - 2
...

	.end_amdgpu_metadata
